;; amdgpu-corpus repo=ROCm/rocFFT kind=compiled arch=gfx950 opt=O3
	.text
	.amdgcn_target "amdgcn-amd-amdhsa--gfx950"
	.amdhsa_code_object_version 6
	.protected	fft_rtc_back_len208_factors_13_16_wgs_64_tpt_16_halfLds_sp_ip_CI_unitstride_sbrr_R2C_dirReg ; -- Begin function fft_rtc_back_len208_factors_13_16_wgs_64_tpt_16_halfLds_sp_ip_CI_unitstride_sbrr_R2C_dirReg
	.globl	fft_rtc_back_len208_factors_13_16_wgs_64_tpt_16_halfLds_sp_ip_CI_unitstride_sbrr_R2C_dirReg
	.p2align	8
	.type	fft_rtc_back_len208_factors_13_16_wgs_64_tpt_16_halfLds_sp_ip_CI_unitstride_sbrr_R2C_dirReg,@function
fft_rtc_back_len208_factors_13_16_wgs_64_tpt_16_halfLds_sp_ip_CI_unitstride_sbrr_R2C_dirReg: ; @fft_rtc_back_len208_factors_13_16_wgs_64_tpt_16_halfLds_sp_ip_CI_unitstride_sbrr_R2C_dirReg
; %bb.0:
	s_load_dwordx2 s[8:9], s[0:1], 0x50
	s_load_dwordx4 s[4:7], s[0:1], 0x0
	s_load_dwordx2 s[10:11], s[0:1], 0x18
	v_lshrrev_b32_e32 v1, 4, v0
	v_lshl_or_b32 v6, s2, 2, v1
	v_mov_b32_e32 v4, 0
	s_waitcnt lgkmcnt(0)
	v_cmp_lt_u64_e64 s[2:3], s[6:7], 2
	v_mov_b32_e32 v7, v4
	s_and_b64 vcc, exec, s[2:3]
	v_mov_b64_e32 v[2:3], 0
	s_cbranch_vccnz .LBB0_8
; %bb.1:
	s_load_dwordx2 s[2:3], s[0:1], 0x10
	s_add_u32 s12, s10, 8
	s_addc_u32 s13, s11, 0
	s_mov_b64 s[14:15], 1
	v_mov_b64_e32 v[2:3], 0
	s_waitcnt lgkmcnt(0)
	s_add_u32 s16, s2, 8
	s_addc_u32 s17, s3, 0
.LBB0_2:                                ; =>This Inner Loop Header: Depth=1
	s_load_dwordx2 s[18:19], s[16:17], 0x0
                                        ; implicit-def: $vgpr8_vgpr9
	s_waitcnt lgkmcnt(0)
	v_or_b32_e32 v5, s19, v7
	v_cmp_ne_u64_e32 vcc, 0, v[4:5]
	s_and_saveexec_b64 s[2:3], vcc
	s_xor_b64 s[20:21], exec, s[2:3]
	s_cbranch_execz .LBB0_4
; %bb.3:                                ;   in Loop: Header=BB0_2 Depth=1
	v_cvt_f32_u32_e32 v5, s18
	v_cvt_f32_u32_e32 v8, s19
	s_sub_u32 s2, 0, s18
	s_subb_u32 s3, 0, s19
	v_fmac_f32_e32 v5, 0x4f800000, v8
	v_rcp_f32_e32 v5, v5
	s_nop 0
	v_mul_f32_e32 v5, 0x5f7ffffc, v5
	v_mul_f32_e32 v8, 0x2f800000, v5
	v_trunc_f32_e32 v8, v8
	v_fmac_f32_e32 v5, 0xcf800000, v8
	v_cvt_u32_f32_e32 v12, v8
	v_cvt_u32_f32_e32 v5, v5
	v_mul_lo_u32 v8, s2, v12
	v_mul_hi_u32 v10, s2, v5
	v_mul_lo_u32 v9, s3, v5
	v_add_u32_e32 v10, v10, v8
	v_mul_lo_u32 v13, s2, v5
	v_add_u32_e32 v14, v10, v9
	v_mul_hi_u32 v8, v5, v13
	v_mul_hi_u32 v11, v5, v14
	v_mul_lo_u32 v10, v5, v14
	v_mov_b32_e32 v9, v4
	v_lshl_add_u64 v[8:9], v[8:9], 0, v[10:11]
	v_mul_hi_u32 v11, v12, v13
	v_mul_lo_u32 v13, v12, v13
	v_add_co_u32_e32 v8, vcc, v8, v13
	v_mul_hi_u32 v10, v12, v14
	s_nop 0
	v_addc_co_u32_e32 v8, vcc, v9, v11, vcc
	v_mov_b32_e32 v9, v4
	s_nop 0
	v_addc_co_u32_e32 v11, vcc, 0, v10, vcc
	v_mul_lo_u32 v10, v12, v14
	v_lshl_add_u64 v[8:9], v[8:9], 0, v[10:11]
	v_add_co_u32_e32 v5, vcc, v5, v8
	v_mul_lo_u32 v10, s2, v5
	s_nop 0
	v_addc_co_u32_e32 v12, vcc, v12, v9, vcc
	v_mul_lo_u32 v8, s2, v12
	v_mul_hi_u32 v9, s2, v5
	v_add_u32_e32 v8, v9, v8
	v_mul_lo_u32 v9, s3, v5
	v_add_u32_e32 v13, v8, v9
	v_mul_hi_u32 v15, v12, v10
	v_mul_lo_u32 v16, v12, v10
	v_mul_hi_u32 v9, v5, v13
	v_mul_lo_u32 v8, v5, v13
	v_mul_hi_u32 v10, v5, v10
	v_mov_b32_e32 v11, v4
	v_lshl_add_u64 v[8:9], v[10:11], 0, v[8:9]
	v_add_co_u32_e32 v8, vcc, v8, v16
	v_mul_hi_u32 v14, v12, v13
	s_nop 0
	v_addc_co_u32_e32 v8, vcc, v9, v15, vcc
	v_mul_lo_u32 v10, v12, v13
	s_nop 0
	v_addc_co_u32_e32 v11, vcc, 0, v14, vcc
	v_mov_b32_e32 v9, v4
	v_lshl_add_u64 v[8:9], v[8:9], 0, v[10:11]
	v_add_co_u32_e32 v5, vcc, v5, v8
	v_mul_hi_u32 v10, v6, v5
	s_nop 0
	v_addc_co_u32_e32 v12, vcc, v12, v9, vcc
	v_mad_u64_u32 v[8:9], s[2:3], v6, v12, 0
	v_mov_b32_e32 v11, v4
	v_lshl_add_u64 v[8:9], v[10:11], 0, v[8:9]
	v_mad_u64_u32 v[10:11], s[2:3], v7, v12, 0
	v_mad_u64_u32 v[12:13], s[2:3], v7, v5, 0
	v_add_co_u32_e32 v5, vcc, v8, v12
	s_nop 1
	v_addc_co_u32_e32 v8, vcc, v9, v13, vcc
	v_mov_b32_e32 v9, v4
	s_nop 0
	v_addc_co_u32_e32 v11, vcc, 0, v11, vcc
	v_lshl_add_u64 v[8:9], v[8:9], 0, v[10:11]
	v_mul_lo_u32 v5, s19, v8
	v_mul_lo_u32 v12, s18, v9
	v_mad_u64_u32 v[10:11], s[2:3], s18, v8, 0
	v_add3_u32 v5, v11, v12, v5
	v_sub_u32_e32 v11, v7, v5
	v_mov_b32_e32 v12, s19
	v_sub_co_u32_e32 v14, vcc, v6, v10
	s_nop 1
	v_subb_co_u32_e64 v10, s[2:3], v11, v12, vcc
	v_subrev_co_u32_e64 v11, s[2:3], s18, v14
	v_subb_co_u32_e32 v5, vcc, v7, v5, vcc
	s_nop 0
	v_subbrev_co_u32_e64 v10, s[2:3], 0, v10, s[2:3]
	v_cmp_le_u32_e64 s[2:3], s19, v10
	v_cmp_le_u32_e32 vcc, s19, v5
	s_nop 0
	v_cndmask_b32_e64 v12, 0, -1, s[2:3]
	v_cmp_le_u32_e64 s[2:3], s18, v11
	s_nop 1
	v_cndmask_b32_e64 v11, 0, -1, s[2:3]
	v_cmp_eq_u32_e64 s[2:3], s19, v10
	s_nop 1
	v_cndmask_b32_e64 v15, v12, v11, s[2:3]
	v_lshl_add_u64 v[10:11], v[8:9], 0, 2
	v_lshl_add_u64 v[12:13], v[8:9], 0, 1
	v_cmp_ne_u32_e64 s[2:3], 0, v15
	s_nop 1
	v_cndmask_b32_e64 v11, v13, v11, s[2:3]
	v_cndmask_b32_e64 v13, 0, -1, vcc
	v_cmp_le_u32_e32 vcc, s18, v14
	s_nop 1
	v_cndmask_b32_e64 v14, 0, -1, vcc
	v_cmp_eq_u32_e32 vcc, s19, v5
	s_nop 1
	v_cndmask_b32_e32 v5, v13, v14, vcc
	v_cmp_ne_u32_e32 vcc, 0, v5
	v_cndmask_b32_e64 v5, v12, v10, s[2:3]
	s_nop 0
	v_cndmask_b32_e32 v9, v9, v11, vcc
	v_cndmask_b32_e32 v8, v8, v5, vcc
.LBB0_4:                                ;   in Loop: Header=BB0_2 Depth=1
	s_andn2_saveexec_b64 s[2:3], s[20:21]
	s_cbranch_execz .LBB0_6
; %bb.5:                                ;   in Loop: Header=BB0_2 Depth=1
	v_cvt_f32_u32_e32 v5, s18
	s_sub_i32 s20, 0, s18
	v_rcp_iflag_f32_e32 v5, v5
	s_nop 0
	v_mul_f32_e32 v5, 0x4f7ffffe, v5
	v_cvt_u32_f32_e32 v5, v5
	v_mul_lo_u32 v8, s20, v5
	v_mul_hi_u32 v8, v5, v8
	v_add_u32_e32 v5, v5, v8
	v_mul_hi_u32 v5, v6, v5
	v_mul_lo_u32 v8, v5, s18
	v_sub_u32_e32 v8, v6, v8
	v_add_u32_e32 v9, 1, v5
	v_subrev_u32_e32 v10, s18, v8
	v_cmp_le_u32_e32 vcc, s18, v8
	s_nop 1
	v_cndmask_b32_e32 v8, v8, v10, vcc
	v_cndmask_b32_e32 v5, v5, v9, vcc
	v_add_u32_e32 v9, 1, v5
	v_cmp_le_u32_e32 vcc, s18, v8
	s_nop 1
	v_cndmask_b32_e32 v8, v5, v9, vcc
	v_mov_b32_e32 v9, v4
.LBB0_6:                                ;   in Loop: Header=BB0_2 Depth=1
	s_or_b64 exec, exec, s[2:3]
	v_mad_u64_u32 v[10:11], s[2:3], v8, s18, 0
	s_load_dwordx2 s[2:3], s[12:13], 0x0
	v_mul_lo_u32 v5, v9, s18
	v_mul_lo_u32 v12, v8, s19
	v_add3_u32 v5, v11, v12, v5
	v_sub_co_u32_e32 v6, vcc, v6, v10
	s_add_u32 s14, s14, 1
	s_nop 0
	v_subb_co_u32_e32 v5, vcc, v7, v5, vcc
	s_addc_u32 s15, s15, 0
	s_waitcnt lgkmcnt(0)
	v_mul_lo_u32 v5, s2, v5
	v_mul_lo_u32 v7, s3, v6
	v_mad_u64_u32 v[2:3], s[2:3], s2, v6, v[2:3]
	s_add_u32 s12, s12, 8
	v_add3_u32 v3, v7, v3, v5
	s_addc_u32 s13, s13, 0
	v_mov_b64_e32 v[6:7], s[6:7]
	s_add_u32 s16, s16, 8
	v_cmp_ge_u64_e32 vcc, s[14:15], v[6:7]
	s_addc_u32 s17, s17, 0
	s_cbranch_vccnz .LBB0_9
; %bb.7:                                ;   in Loop: Header=BB0_2 Depth=1
	v_mov_b64_e32 v[6:7], v[8:9]
	s_branch .LBB0_2
.LBB0_8:
	v_mov_b64_e32 v[8:9], v[6:7]
.LBB0_9:
	s_lshl_b64 s[2:3], s[6:7], 3
	s_add_u32 s2, s10, s2
	s_addc_u32 s3, s11, s3
	s_load_dwordx2 s[6:7], s[2:3], 0x0
	s_load_dwordx2 s[10:11], s[0:1], 0x20
	v_mul_u32_u24_e32 v1, 0xd1, v1
	v_and_b32_e32 v10, 15, v0
	v_lshlrev_b32_e32 v12, 3, v10
	s_waitcnt lgkmcnt(0)
	v_mul_lo_u32 v4, s6, v9
	v_mul_lo_u32 v5, s7, v8
	v_mad_u64_u32 v[2:3], s[0:1], s6, v8, v[2:3]
	v_add3_u32 v3, v5, v3, v4
	v_cmp_gt_u64_e32 vcc, s[10:11], v[8:9]
	v_lshl_add_u64 v[8:9], v[2:3], 3, s[8:9]
	v_lshlrev_b32_e32 v0, 3, v1
	s_and_saveexec_b64 s[0:1], vcc
	s_cbranch_execz .LBB0_11
; %bb.10:
	v_mov_b32_e32 v13, 0
	v_lshl_add_u64 v[2:3], v[8:9], 0, v[12:13]
	global_load_dwordx2 v[4:5], v[2:3], off
	global_load_dwordx2 v[6:7], v[2:3], off offset:128
	global_load_dwordx2 v[14:15], v[2:3], off offset:256
	;; [unrolled: 1-line block ×12, first 2 shown]
	v_add3_u32 v1, 0, v0, v12
	s_waitcnt vmcnt(11)
	ds_write2_b64 v1, v[4:5], v[6:7] offset1:16
	s_waitcnt vmcnt(9)
	ds_write2_b64 v1, v[14:15], v[16:17] offset0:32 offset1:48
	s_waitcnt vmcnt(7)
	ds_write2_b64 v1, v[18:19], v[20:21] offset0:64 offset1:80
	;; [unrolled: 2-line block ×5, first 2 shown]
	s_waitcnt vmcnt(0)
	ds_write_b64 v1, v[34:35] offset:1536
.LBB0_11:
	s_or_b64 exec, exec, s[0:1]
	v_add3_u32 v86, 0, v12, v0
	s_waitcnt lgkmcnt(0)
	; wave barrier
	s_waitcnt lgkmcnt(0)
	ds_read2_b64 v[54:57], v86 offset0:176 offset1:192
	ds_read2_b64 v[20:23], v86 offset0:16 offset1:32
	s_mov_b32 s8, 0xbe750f2a
	s_mov_b32 s9, 0xbf788fa5
	v_add_u32_e32 v11, 0, v0
	v_add_u32_e32 v13, v11, v12
	s_waitcnt lgkmcnt(0)
	v_pk_add_f32 v[40:41], v[20:21], v[56:57] neg_lo:[0,1] neg_hi:[0,1]
	v_pk_add_f32 v[28:29], v[20:21], v[56:57]
	ds_read2_b64 v[24:27], v86 offset0:48 offset1:64
	ds_read2_b64 v[34:37], v86 offset0:144 offset1:160
	v_mov_b32_e32 v41, v29
	v_pk_mul_f32 v[14:15], v[40:41], s[8:9]
	v_mov_b32_e32 v30, v54
	v_mov_b32_e32 v1, v14
	v_pk_fma_f32 v[16:17], v[40:41], s[8:9], v[0:1]
	ds_read_b64 v[18:19], v13
	ds_read2_b64 v[0:3], v86 offset0:80 offset1:96
	ds_read2_b64 v[4:7], v86 offset0:112 offset1:128
	v_mov_b32_e32 v31, v56
	v_mov_b32_e32 v46, v22
	;; [unrolled: 1-line block ×3, first 2 shown]
	v_pk_add_f32 v[30:31], v[30:31], v[46:47]
	v_mov_b32_e32 v47, v21
	s_waitcnt lgkmcnt(2)
	v_pk_add_f32 v[20:21], v[18:19], v[20:21]
	v_mov_b32_e32 v32, v55
	v_pk_add_f32 v[20:21], v[20:21], v[22:23]
	v_mov_b32_e32 v33, v57
	;; [unrolled: 2-line block ×3, first 2 shown]
	v_pk_add_f32 v[20:21], v[20:21], v[26:27]
	v_pk_add_f32 v[32:33], v[46:47], v[32:33] neg_lo:[0,1] neg_hi:[0,1]
	s_waitcnt lgkmcnt(1)
	v_pk_add_f32 v[20:21], v[20:21], v[0:1]
	v_mov_b32_e32 v46, v37
	v_pk_add_f32 v[20:21], v[20:21], v[2:3]
	v_mov_b32_e32 v47, v55
	v_mov_b32_e32 v48, v25
	;; [unrolled: 1-line block ×3, first 2 shown]
	s_waitcnt lgkmcnt(0)
	v_pk_add_f32 v[20:21], v[20:21], v[4:5]
	v_pk_add_f32 v[42:43], v[26:27], v[34:35] neg_lo:[0,1] neg_hi:[0,1]
	v_pk_add_f32 v[38:39], v[26:27], v[34:35]
	s_mov_b32 s0, 0x3f52af12
	s_mov_b32 s2, 0x3f62ad3f
	;; [unrolled: 1-line block ×3, first 2 shown]
	v_pk_add_f32 v[46:47], v[46:47], v[48:49]
	v_mov_b32_e32 v48, v24
	v_mov_b32_e32 v49, v22
	;; [unrolled: 1-line block ×4, first 2 shown]
	v_pk_add_f32 v[20:21], v[20:21], v[6:7]
	v_mov_b32_e32 v43, v39
	s_mov_b32 s1, 0x3f116cb1
	v_pk_add_f32 v[48:49], v[48:49], v[50:51] neg_lo:[0,1] neg_hi:[0,1]
	s_mov_b32 s6, 0xbf3f9e67
	s_mov_b32 s7, s2
	;; [unrolled: 1-line block ×4, first 2 shown]
	v_pk_add_f32 v[20:21], v[20:21], v[34:35]
	v_pk_mul_f32 v[44:45], v[42:43], s[0:1]
	v_pk_mul_f32 v[50:51], v[46:47], s[6:7]
	v_mov_b32_e32 v58, v27
	v_mov_b32_e32 v59, v25
	;; [unrolled: 1-line block ×4, first 2 shown]
	v_pk_add_f32 v[62:63], v[20:21], v[36:37]
	v_pk_mul_f32 v[20:21], v[48:49], s[10:11]
	s_mov_b32 s13, s8
	v_mov_b32_e32 v22, v26
	v_mov_b32_e32 v25, v36
	;; [unrolled: 1-line block ×8, first 2 shown]
	v_pk_fma_f32 v[20:21], v[48:49], s[10:11], v[50:51]
	v_pk_add_f32 v[36:37], v[58:59], v[60:61] neg_lo:[0,1] neg_hi:[0,1]
	v_mov_b32_e32 v28, v33
	s_mov_b32 s11, s6
	v_mov_b32_e32 v60, v5
	v_mov_b32_e32 v72, v3
	;; [unrolled: 1-line block ×4, first 2 shown]
	s_mov_b32 s26, 0x3f7e222b
	s_mov_b32 s3, s9
	v_mov_b32_e32 v23, v24
	v_mov_b32_e32 v24, v34
	v_pk_add_f32 v[26:27], v[26:27], v[14:15] neg_lo:[0,1] neg_hi:[0,1]
	v_pk_mul_f32 v[14:15], v[32:33], s[12:13]
	v_mov_b32_e32 v53, v50
	v_pk_add_f32 v[68:69], v[2:3], v[4:5] neg_lo:[0,1] neg_hi:[0,1]
	v_pk_add_f32 v[50:51], v[4:5], v[2:3]
	v_pk_mul_f32 v[4:5], v[28:29], s[10:11]
	v_mov_b32_e32 v75, v40
	v_mov_b32_e32 v74, v31
	s_mov_b32 s7, s10
	s_mov_b32 s27, 0x3df6dbef
	v_pk_add_f32 v[34:35], v[24:25], v[22:23]
	v_pk_fma_f32 v[24:25], v[30:31], s[2:3], v[14:15]
	v_pk_fma_f32 v[22:23], v[30:31], s[2:3], v[14:15] neg_lo:[0,0,1] neg_hi:[0,0,1]
	v_mov_b32_e32 v61, v7
	v_mov_b32_e32 v73, v1
	v_pk_fma_f32 v[0:1], v[74:75], s[6:7], v[4:5]
	v_pk_fma_f32 v[6:7], v[74:75], s[6:7], v[4:5] neg_lo:[0,0,1] neg_hi:[0,0,1]
	v_mov_b32_e32 v33, v47
	v_mov_b32_e32 v31, v49
	s_mov_b32 s24, s27
	s_mov_b32 s25, s26
	v_pk_add_f32 v[14:15], v[62:63], v[54:55]
	v_mov_b32_e32 v7, v1
	v_pk_mul_f32 v[0:1], v[74:75], s[6:7]
	v_pk_mul_f32 v[40:41], v[30:31], s[24:25]
	;; [unrolled: 1-line block ×3, first 2 shown]
	v_pk_add_f32 v[14:15], v[14:15], v[56:57]
	v_mov_b32_e32 v3, v0
	v_mov_b32_e32 v57, v4
	;; [unrolled: 1-line block ×5, first 2 shown]
	v_pk_add_f32 v[40:41], v[4:5], v[0:1] neg_lo:[0,1] neg_hi:[0,1]
	v_pk_fma_f32 v[0:1], v[30:31], s[24:25], v[54:55]
	v_pk_fma_f32 v[4:5], v[30:31], s[24:25], v[54:55] neg_lo:[0,0,1] neg_hi:[0,0,1]
	v_mov_b32_e32 v83, v46
	v_mov_b32_e32 v82, v37
	s_mov_b32 s22, 0xbf52af12
	s_mov_b32 s23, s1
	v_mov_b32_e32 v5, v1
	v_pk_add_f32 v[0:1], v[18:19], v[6:7]
	v_mov_b32_e32 v85, v48
	v_mov_b32_e32 v84, v35
	s_mov_b32 s20, s1
	s_mov_b32 s21, s22
	v_pk_mul_f32 v[46:47], v[82:83], s[22:23]
	v_pk_add_f32 v[0:1], v[4:5], v[0:1]
	v_pk_fma_f32 v[4:5], v[84:85], s[20:21], v[46:47]
	v_pk_fma_f32 v[6:7], v[84:85], s[20:21], v[46:47] neg_lo:[0,0,1] neg_hi:[0,0,1]
	s_mov_b32 s14, s0
	s_mov_b32 s15, s10
	v_mov_b32_e32 v7, v5
	v_pk_mul_f32 v[4:5], v[36:37], s[14:15]
	s_mov_b32 s14, s1
	s_mov_b32 s15, s6
	;; [unrolled: 1-line block ×3, first 2 shown]
	v_mov_b32_e32 v37, v39
	v_pk_fma_f32 v[38:39], v[34:35], s[14:15], v[4:5]
	v_pk_fma_f32 v[4:5], v[34:35], s[14:15], v[4:5] neg_lo:[0,0,1] neg_hi:[0,0,1]
	v_mov_b32_e32 v35, v42
	s_mov_b32 s17, s9
	s_mov_b32 s14, s9
	;; [unrolled: 1-line block ×3, first 2 shown]
	v_mov_b32_e32 v56, v54
	v_pk_add_f32 v[48:49], v[6:7], v[0:1]
	v_pk_add_f32 v[6:7], v[52:53], v[44:45] neg_lo:[0,1] neg_hi:[0,1]
	v_mov_b32_e32 v1, v44
	v_pk_mul_f32 v[44:45], v[84:85], s[20:21]
	v_pk_mul_f32 v[52:53], v[34:35], s[14:15]
	;; [unrolled: 1-line block ×3, first 2 shown]
	v_pk_add_f32 v[2:3], v[2:3], v[56:57]
	v_pk_fma_f32 v[0:1], v[42:43], s[0:1], v[0:1]
	v_mov_b32_e32 v43, v44
	v_mov_b32_e32 v57, v46
	;; [unrolled: 1-line block ×5, first 2 shown]
	v_pk_add_f32 v[44:45], v[46:47], v[44:45] neg_lo:[0,1] neg_hi:[0,1]
	v_pk_fma_f32 v[46:47], v[34:35], s[14:15], v[54:55]
	v_pk_fma_f32 v[52:53], v[34:35], s[14:15], v[54:55] neg_lo:[0,0,1] neg_hi:[0,0,1]
	s_mov_b32 s18, 0xbeedf032
	v_mov_b32_e32 v53, v47
	s_mov_b32 s19, s2
	v_mov_b32_e32 v56, v54
	v_pk_add_f32 v[88:89], v[52:53], v[48:49]
	s_mov_b32 s3, s18
	v_pk_mul_f32 v[48:49], v[28:29], s[18:19]
	v_pk_add_f32 v[42:43], v[42:43], v[56:57]
	v_pk_fma_f32 v[46:47], v[74:75], s[2:3], v[48:49]
	v_pk_fma_f32 v[54:55], v[74:75], s[2:3], v[48:49] neg_lo:[0,0,1] neg_hi:[0,0,1]
	v_pk_mul_f32 v[52:53], v[74:75], s[2:3]
	v_pk_mul_f32 v[56:57], v[30:31], s[20:21]
	;; [unrolled: 1-line block ×3, first 2 shown]
	s_mov_b32 s28, 0xbf6f5d39
	v_mov_b32_e32 v55, v47
	v_mov_b32_e32 v47, v52
	;; [unrolled: 1-line block ×5, first 2 shown]
	s_mov_b32 s36, 0xbf7e222b
	s_mov_b32 s37, s27
	;; [unrolled: 1-line block ×3, first 2 shown]
	v_mov_b32_e32 v46, v56
	v_mov_b32_e32 v62, v58
	v_pk_add_f32 v[48:49], v[48:49], v[52:53] neg_lo:[0,1] neg_hi:[0,1]
	v_pk_fma_f32 v[52:53], v[30:31], s[20:21], v[58:59]
	v_pk_fma_f32 v[58:59], v[30:31], s[20:21], v[58:59] neg_lo:[0,0,1] neg_hi:[0,0,1]
	s_mov_b32 s34, s27
	s_mov_b32 s35, s36
	v_pk_mul_f32 v[56:57], v[82:83], s[36:37]
	s_mov_b32 s18, s29
	s_mov_b32 s19, s28
	v_pk_add_f32 v[46:47], v[46:47], v[62:63]
	v_mov_b32_e32 v59, v53
	v_pk_fma_f32 v[52:53], v[84:85], s[34:35], v[56:57]
	v_pk_fma_f32 v[62:63], v[84:85], s[34:35], v[56:57] neg_lo:[0,0,1] neg_hi:[0,0,1]
	v_pk_mul_f32 v[64:65], v[84:85], s[34:35]
	v_pk_mul_f32 v[66:67], v[34:35], s[18:19]
	;; [unrolled: 1-line block ×3, first 2 shown]
	v_mov_b32_e32 v63, v53
	v_mov_b32_e32 v53, v64
	;; [unrolled: 1-line block ×5, first 2 shown]
	v_pk_add_f32 v[54:55], v[18:19], v[54:55]
	v_mov_b32_e32 v52, v66
	v_pk_add_f32 v[56:57], v[56:57], v[64:65] neg_lo:[0,1] neg_hi:[0,1]
	v_pk_fma_f32 v[64:65], v[34:35], s[18:19], v[70:71]
	v_pk_fma_f32 v[66:67], v[34:35], s[18:19], v[70:71] neg_lo:[0,0,1] neg_hi:[0,0,1]
	v_pk_add_f32 v[54:55], v[58:59], v[54:55]
	v_mov_b32_e32 v67, v65
	v_pk_add_f32 v[54:55], v[62:63], v[54:55]
	v_pk_mul_f32 v[58:59], v[28:29], s[22:23]
	v_mov_b32_e32 v76, v70
	v_pk_add_f32 v[90:91], v[66:67], v[54:55]
	v_pk_fma_f32 v[54:55], v[74:75], s[20:21], v[58:59]
	v_pk_fma_f32 v[66:67], v[74:75], s[20:21], v[58:59] neg_lo:[0,0,1] neg_hi:[0,0,1]
	v_pk_mul_f32 v[62:63], v[74:75], s[20:21]
	v_pk_mul_f32 v[64:65], v[30:31], s[18:19]
	;; [unrolled: 1-line block ×3, first 2 shown]
	v_pk_add_f32 v[52:53], v[52:53], v[76:77]
	v_mov_b32_e32 v67, v55
	v_mov_b32_e32 v55, v62
	;; [unrolled: 1-line block ×5, first 2 shown]
	s_mov_b32 s38, 0x3f29c268
	v_mov_b32_e32 v54, v64
	v_mov_b32_e32 v76, v70
	v_pk_add_f32 v[58:59], v[58:59], v[62:63] neg_lo:[0,1] neg_hi:[0,1]
	v_pk_fma_f32 v[62:63], v[30:31], s[18:19], v[70:71]
	v_pk_fma_f32 v[70:71], v[30:31], s[18:19], v[70:71] neg_lo:[0,0,1] neg_hi:[0,0,1]
	s_mov_b32 s30, s9
	s_mov_b32 s31, s8
	v_pk_mul_f32 v[64:65], v[82:83], s[8:9]
	s_mov_b32 s39, s6
	s_mov_b32 s40, s6
	;; [unrolled: 1-line block ×3, first 2 shown]
	v_pk_add_f32 v[54:55], v[54:55], v[76:77]
	v_mov_b32_e32 v71, v63
	v_pk_fma_f32 v[62:63], v[84:85], s[30:31], v[64:65]
	v_pk_fma_f32 v[76:77], v[84:85], s[30:31], v[64:65] neg_lo:[0,0,1] neg_hi:[0,0,1]
	v_pk_mul_f32 v[78:79], v[84:85], s[30:31]
	v_pk_mul_f32 v[80:81], v[34:35], s[40:41]
	;; [unrolled: 1-line block ×3, first 2 shown]
	v_mov_b32_e32 v77, v63
	v_mov_b32_e32 v63, v78
	;; [unrolled: 1-line block ×5, first 2 shown]
	v_pk_add_f32 v[66:67], v[18:19], v[66:67]
	v_mov_b32_e32 v62, v80
	v_pk_add_f32 v[64:65], v[64:65], v[78:79] neg_lo:[0,1] neg_hi:[0,1]
	v_pk_fma_f32 v[78:79], v[34:35], s[40:41], v[92:93]
	v_pk_fma_f32 v[80:81], v[34:35], s[40:41], v[92:93] neg_lo:[0,0,1] neg_hi:[0,0,1]
	v_pk_add_f32 v[66:67], v[70:71], v[66:67]
	v_mov_b32_e32 v94, v92
	v_mov_b32_e32 v81, v79
	v_pk_add_f32 v[66:67], v[76:77], v[66:67]
	v_pk_mul_f32 v[70:71], v[28:29], s[36:37]
	v_pk_add_f32 v[62:63], v[62:63], v[94:95]
	v_pk_add_f32 v[92:93], v[80:81], v[66:67]
	v_pk_fma_f32 v[66:67], v[74:75], s[34:35], v[70:71]
	v_pk_fma_f32 v[80:81], v[74:75], s[34:35], v[70:71] neg_lo:[0,0,1] neg_hi:[0,0,1]
	v_pk_mul_f32 v[76:77], v[74:75], s[34:35]
	v_pk_mul_f32 v[78:79], v[30:31], s[30:31]
	;; [unrolled: 1-line block ×3, first 2 shown]
	v_mov_b32_e32 v81, v67
	v_mov_b32_e32 v67, v76
	;; [unrolled: 1-line block ×5, first 2 shown]
	s_mov_b32 s42, 0x3f6f5d39
	s_mov_b32 s43, s29
	v_mov_b32_e32 v66, v78
	v_mov_b32_e32 v96, v94
	v_pk_add_f32 v[70:71], v[70:71], v[76:77] neg_lo:[0,1] neg_hi:[0,1]
	v_pk_fma_f32 v[76:77], v[30:31], s[30:31], v[94:95]
	v_pk_fma_f32 v[94:95], v[30:31], s[30:31], v[94:95] neg_lo:[0,0,1] neg_hi:[0,0,1]
	s_mov_b32 s44, s29
	s_mov_b32 s45, s42
	v_pk_mul_f32 v[78:79], v[82:83], s[42:43]
	s_mov_b32 s13, s2
	s_mov_b32 s3, s12
	v_pk_add_f32 v[66:67], v[66:67], v[96:97]
	v_mov_b32_e32 v95, v77
	v_pk_fma_f32 v[76:77], v[84:85], s[44:45], v[78:79]
	v_pk_fma_f32 v[96:97], v[84:85], s[44:45], v[78:79] neg_lo:[0,0,1] neg_hi:[0,0,1]
	v_pk_mul_f32 v[98:99], v[84:85], s[44:45]
	v_pk_mul_f32 v[100:101], v[34:35], s[2:3]
	;; [unrolled: 1-line block ×3, first 2 shown]
	v_mov_b32_e32 v97, v77
	v_mov_b32_e32 v77, v98
	;; [unrolled: 1-line block ×5, first 2 shown]
	v_pk_add_f32 v[80:81], v[18:19], v[80:81]
	v_mov_b32_e32 v76, v100
	v_pk_add_f32 v[78:79], v[78:79], v[98:99] neg_lo:[0,1] neg_hi:[0,1]
	v_pk_fma_f32 v[98:99], v[34:35], s[2:3], v[102:103]
	v_pk_fma_f32 v[100:101], v[34:35], s[2:3], v[102:103] neg_lo:[0,0,1] neg_hi:[0,0,1]
	v_pk_add_f32 v[80:81], v[94:95], v[80:81]
	v_mov_b32_e32 v101, v99
	v_pk_add_f32 v[80:81], v[96:97], v[80:81]
	v_pk_mul_f32 v[28:29], v[28:29], s[28:29]
	v_pk_add_f32 v[94:95], v[100:101], v[80:81]
	v_pk_fma_f32 v[80:81], v[74:75], s[18:19], v[28:29]
	v_pk_fma_f32 v[96:97], v[74:75], s[18:19], v[28:29] neg_lo:[0,0,1] neg_hi:[0,0,1]
	v_pk_mul_f32 v[32:33], v[32:33], s[38:39]
	v_mov_b32_e32 v97, v81
	v_pk_mul_f32 v[80:81], v[74:75], s[18:19]
	v_pk_mul_f32 v[98:99], v[30:31], s[40:41]
	v_mov_b32_e32 v75, v80
	v_mov_b32_e32 v101, v28
	;; [unrolled: 1-line block ×4, first 2 shown]
	v_pk_add_f32 v[80:81], v[28:29], v[80:81] neg_lo:[0,1] neg_hi:[0,1]
	v_pk_fma_f32 v[28:29], v[30:31], s[40:41], v[32:33]
	v_pk_fma_f32 v[30:31], v[30:31], s[40:41], v[32:33] neg_lo:[0,0,1] neg_hi:[0,0,1]
	v_mov_b32_e32 v74, v98
	v_mov_b32_e32 v31, v29
	v_pk_mul_f32 v[28:29], v[82:83], s[12:13]
	v_mov_b32_e32 v100, v32
	v_pk_fma_f32 v[32:33], v[84:85], s[2:3], v[28:29]
	v_pk_fma_f32 v[98:99], v[84:85], s[2:3], v[28:29] neg_lo:[0,0,1] neg_hi:[0,0,1]
	v_pk_mul_f32 v[36:37], v[36:37], s[36:37]
	v_mov_b32_e32 v99, v33
	v_pk_mul_f32 v[32:33], v[84:85], s[2:3]
	v_pk_mul_f32 v[84:85], v[34:35], s[34:35]
	v_pk_add_f32 v[74:75], v[74:75], v[100:101]
	v_mov_b32_e32 v83, v32
	v_mov_b32_e32 v101, v28
	v_mov_b32_e32 v32, v85
	v_mov_b32_e32 v28, v37
	v_mov_b32_e32 v82, v84
	v_pk_add_f32 v[84:85], v[28:29], v[32:33] neg_lo:[0,1] neg_hi:[0,1]
	v_pk_fma_f32 v[28:29], v[34:35], s[34:35], v[36:37]
	v_pk_fma_f32 v[32:33], v[34:35], s[34:35], v[36:37] neg_lo:[0,0,1] neg_hi:[0,0,1]
	v_pk_add_f32 v[34:35], v[72:73], v[60:61] neg_lo:[0,1] neg_hi:[0,1]
	v_mov_b32_e32 v33, v29
	v_pk_add_f32 v[28:29], v[18:19], v[96:97]
	v_mov_b32_e32 v100, v36
	v_pk_add_f32 v[28:29], v[30:31], v[28:29]
	;; [unrolled: 2-line block ×4, first 2 shown]
	v_pk_add_f32 v[28:29], v[60:61], v[72:73]
	v_mov_b32_e32 v97, v69
	v_mov_b32_e32 v37, v29
	v_pk_mul_f32 v[98:99], v[36:37], s[12:13]
	s_mov_b32 s36, s26
	v_pk_fma_f32 v[32:33], v[96:97], s[2:3], v[98:99]
	v_pk_fma_f32 v[60:61], v[96:97], s[2:3], v[98:99] neg_lo:[0,0,1] neg_hi:[0,0,1]
	s_mov_b32 s37, s28
	v_mov_b32_e32 v61, v33
	v_pk_mul_f32 v[32:33], v[36:37], s[10:11]
	v_mov_b32_e32 v104, v102
	v_pk_add_f32 v[82:83], v[82:83], v[100:101]
	v_pk_add_f32 v[88:89], v[60:61], v[88:89]
	v_pk_fma_f32 v[60:61], v[96:97], s[6:7], v[32:33]
	v_pk_fma_f32 v[100:101], v[96:97], s[6:7], v[32:33] neg_lo:[0,0,1] neg_hi:[0,0,1]
	s_mov_b32 s35, s29
	v_pk_mul_f32 v[72:73], v[68:69], s[36:37]
	v_pk_mul_f32 v[102:103], v[34:35], s[36:37]
	v_mov_b32_e32 v35, v28
	v_mov_b32_e32 v69, v68
	;; [unrolled: 1-line block ×3, first 2 shown]
	v_pk_add_f32 v[76:77], v[76:77], v[104:105]
	v_mov_b32_e32 v101, v61
	v_pk_fma_f32 v[60:61], v[28:29], s[34:35], v[72:73]
	v_pk_fma_f32 v[72:73], v[28:29], s[34:35], v[72:73] neg_lo:[0,0,1] neg_hi:[0,0,1]
	v_pk_mul_f32 v[28:29], v[96:97], s[6:7]
	v_pk_mul_f32 v[104:105], v[68:69], s[30:31]
	;; [unrolled: 1-line block ×3, first 2 shown]
	v_mov_b32_e32 v107, v28
	v_mov_b32_e32 v111, v32
	;; [unrolled: 1-line block ×6, first 2 shown]
	v_pk_add_f32 v[104:105], v[32:33], v[28:29] neg_lo:[0,1] neg_hi:[0,1]
	v_pk_fma_f32 v[28:29], v[68:69], s[30:31], v[108:109]
	v_pk_fma_f32 v[108:109], v[68:69], s[30:31], v[108:109] neg_lo:[0,0,1] neg_hi:[0,0,1]
	v_pk_add_f32 v[90:91], v[100:101], v[90:91]
	v_mov_b32_e32 v109, v29
	v_pk_mul_f32 v[28:29], v[36:37], s[26:27]
	v_pk_add_f32 v[106:107], v[106:107], v[110:111]
	v_pk_fma_f32 v[32:33], v[96:97], s[24:25], v[28:29]
	v_pk_fma_f32 v[100:101], v[96:97], s[24:25], v[28:29] neg_lo:[0,0,1] neg_hi:[0,0,1]
	v_pk_mul_f32 v[110:111], v[68:69], s[2:3]
	v_mov_b32_e32 v101, v33
	v_pk_mul_f32 v[32:33], v[96:97], s[24:25]
	v_pk_mul_f32 v[114:115], v[34:35], s[12:13]
	v_mov_b32_e32 v113, v32
	v_mov_b32_e32 v117, v28
	;; [unrolled: 1-line block ×5, first 2 shown]
	v_pk_add_f32 v[110:111], v[28:29], v[32:33] neg_lo:[0,1] neg_hi:[0,1]
	v_pk_fma_f32 v[28:29], v[68:69], s[2:3], v[114:115]
	v_pk_fma_f32 v[32:33], v[68:69], s[2:3], v[114:115] neg_lo:[0,0,1] neg_hi:[0,0,1]
	v_mov_b32_e32 v116, v114
	v_mov_b32_e32 v33, v29
	v_pk_add_f32 v[28:29], v[100:101], v[92:93]
	v_pk_mul_f32 v[114:115], v[68:69], s[6:7]
	v_pk_add_f32 v[28:29], v[32:33], v[28:29]
	v_pk_mul_f32 v[32:33], v[36:37], s[22:23]
	v_pk_mul_f32 v[118:119], v[34:35], s[10:11]
	v_pk_fma_f32 v[92:93], v[96:97], s[20:21], v[32:33]
	v_pk_fma_f32 v[100:101], v[96:97], s[20:21], v[32:33] neg_lo:[0,0,1] neg_hi:[0,0,1]
	v_pk_add_f32 v[112:113], v[112:113], v[116:117]
	v_mov_b32_e32 v101, v93
	v_pk_mul_f32 v[92:93], v[96:97], s[20:21]
	v_mov_b32_e32 v121, v32
	v_mov_b32_e32 v117, v92
	;; [unrolled: 1-line block ×5, first 2 shown]
	v_pk_add_f32 v[92:93], v[32:33], v[92:93] neg_lo:[0,1] neg_hi:[0,1]
	v_pk_fma_f32 v[32:33], v[68:69], s[6:7], v[118:119]
	v_pk_fma_f32 v[114:115], v[68:69], s[6:7], v[118:119] neg_lo:[0,0,1] neg_hi:[0,0,1]
	v_pk_mul_f32 v[36:37], v[36:37], s[16:17]
	v_mov_b32_e32 v120, v118
	v_mov_b32_e32 v115, v33
	v_pk_add_f32 v[32:33], v[100:101], v[94:95]
	v_pk_fma_f32 v[94:95], v[96:97], s[14:15], v[36:37]
	v_pk_fma_f32 v[100:101], v[96:97], s[14:15], v[36:37] neg_lo:[0,0,1] neg_hi:[0,0,1]
	s_mov_b32 s6, s1
	s_mov_b32 s7, s0
	v_pk_add_f32 v[116:117], v[116:117], v[120:121]
	v_pk_add_f32 v[32:33], v[114:115], v[32:33]
	v_mov_b32_e32 v101, v95
	v_pk_mul_f32 v[94:95], v[96:97], s[14:15]
	v_pk_mul_f32 v[114:115], v[68:69], s[6:7]
	;; [unrolled: 1-line block ×3, first 2 shown]
	v_mov_b32_e32 v119, v94
	v_mov_b32_e32 v123, v36
	;; [unrolled: 1-line block ×5, first 2 shown]
	v_pk_add_f32 v[94:95], v[36:37], v[94:95] neg_lo:[0,1] neg_hi:[0,1]
	v_pk_fma_f32 v[36:37], v[68:69], s[6:7], v[120:121]
	v_pk_fma_f32 v[114:115], v[68:69], s[6:7], v[120:121] neg_lo:[0,0,1] neg_hi:[0,0,1]
	v_pk_add_f32 v[30:31], v[100:101], v[30:31]
	v_mov_b32_e32 v115, v37
	v_pk_mul_f32 v[36:37], v[96:97], s[2:3]
	v_pk_mul_f32 v[34:35], v[34:35], s[28:29]
	;; [unrolled: 1-line block ×3, first 2 shown]
	v_pk_add_f32 v[30:31], v[114:115], v[30:31]
	v_mov_b32_e32 v101, v36
	v_mov_b32_e32 v115, v98
	;; [unrolled: 1-line block ×6, first 2 shown]
	v_pk_add_f32 v[96:97], v[98:99], v[36:37] neg_lo:[0,1] neg_hi:[0,1]
	v_pk_fma_f32 v[36:37], v[68:69], s[18:19], v[34:35]
	v_pk_fma_f32 v[34:35], v[68:69], s[18:19], v[34:35] neg_lo:[0,0,1] neg_hi:[0,0,1]
	v_pk_fma_f32 v[68:69], v[50:51], s[34:35], v[102:103] neg_lo:[0,0,1] neg_hi:[0,0,1]
	v_mov_b32_e32 v35, v37
	v_pk_add_f32 v[36:37], v[34:35], v[88:89]
	v_mov_b32_e32 v34, v47
	v_mov_b32_e32 v35, v49
	;; [unrolled: 1-line block ×3, first 2 shown]
	v_pk_add_f32 v[34:35], v[18:19], v[34:35]
	v_mov_b32_e32 v48, v63
	v_pk_add_f32 v[34:35], v[46:47], v[34:35]
	v_mov_b32_e32 v46, v53
	v_mov_b32_e32 v47, v57
	v_pk_add_f32 v[34:35], v[46:47], v[34:35]
	v_mov_b32_e32 v53, v56
	v_pk_add_f32 v[34:35], v[52:53], v[34:35]
	v_mov_b32_e32 v46, v107
	v_mov_b32_e32 v47, v105
	v_pk_add_f32 v[34:35], v[46:47], v[34:35]
	v_mov_b32_e32 v46, v55
	v_mov_b32_e32 v47, v59
	;; [unrolled: 1-line block ×3, first 2 shown]
	v_pk_add_f32 v[46:47], v[18:19], v[46:47]
	v_mov_b32_e32 v49, v65
	v_pk_add_f32 v[46:47], v[54:55], v[46:47]
	v_mov_b32_e32 v63, v64
	;; [unrolled: 2-line block ×6, first 2 shown]
	v_mov_b32_e32 v47, v71
	v_mov_b32_e32 v67, v70
	v_pk_add_f32 v[46:47], v[18:19], v[46:47]
	v_pk_fma_f32 v[88:89], v[50:51], s[34:35], v[102:103]
	v_pk_add_f32 v[46:47], v[66:67], v[46:47]
	v_mov_b32_e32 v50, v77
	v_mov_b32_e32 v51, v79
	v_pk_add_f32 v[46:47], v[50:51], v[46:47]
	v_mov_b32_e32 v77, v78
	v_pk_add_f32 v[46:47], v[76:77], v[46:47]
	v_mov_b32_e32 v50, v117
	v_mov_b32_e32 v51, v93
	v_pk_add_f32 v[46:47], v[50:51], v[46:47]
	v_mov_b32_e32 v50, v75
	v_mov_b32_e32 v51, v81
	;; [unrolled: 1-line block ×3, first 2 shown]
	v_pk_add_f32 v[50:51], v[18:19], v[50:51]
	v_mov_b32_e32 v122, v120
	v_pk_add_f32 v[50:51], v[74:75], v[50:51]
	v_mov_b32_e32 v52, v83
	v_mov_b32_e32 v53, v85
	v_pk_add_f32 v[118:119], v[118:119], v[122:123]
	v_pk_add_f32 v[50:51], v[52:53], v[50:51]
	v_mov_b32_e32 v83, v84
	v_pk_add_f32 v[50:51], v[82:83], v[50:51]
	v_mov_b32_e32 v52, v119
	v_mov_b32_e32 v53, v95
	v_pk_add_f32 v[50:51], v[52:53], v[50:51]
	v_mov_b32_e32 v52, v3
	v_mov_b32_e32 v53, v41
	v_mov_b32_e32 v3, v40
	v_pk_add_f32 v[40:41], v[18:19], v[52:53]
	v_mov_b32_e32 v16, v23
	v_pk_add_f32 v[2:3], v[2:3], v[40:41]
	v_mov_b32_e32 v40, v43
	v_mov_b32_e32 v41, v45
	v_pk_add_f32 v[2:3], v[40:41], v[2:3]
	v_mov_b32_e32 v43, v44
	v_pk_add_f32 v[2:3], v[42:43], v[2:3]
	v_mov_b32_e32 v42, v25
	v_mov_b32_e32 v43, v27
	;; [unrolled: 1-line block ×3, first 2 shown]
	v_pk_add_f32 v[26:27], v[18:19], v[42:43]
	v_mov_b32_e32 v23, v21
	v_pk_add_f32 v[24:25], v[24:25], v[26:27]
	v_mov_b32_e32 v26, v39
	v_mov_b32_e32 v27, v7
	v_pk_add_f32 v[24:25], v[26:27], v[24:25]
	v_mov_b32_e32 v39, v6
	v_pk_add_f32 v[6:7], v[38:39], v[24:25]
	v_mov_b32_e32 v24, v89
	v_mov_b32_e32 v25, v73
	v_pk_add_f32 v[6:7], v[24:25], v[6:7]
	v_mov_b32_e32 v89, v72
	v_pk_add_f32 v[24:25], v[88:89], v[6:7]
	v_pk_add_f32 v[6:7], v[18:19], v[16:17]
	v_mov_b32_e32 v16, v5
	v_pk_add_f32 v[6:7], v[22:23], v[6:7]
	v_mov_b32_e32 v17, v20
	v_pk_add_f32 v[100:101], v[100:101], v[114:115]
	v_pk_add_f32 v[6:7], v[16:17], v[6:7]
	v_mov_b32_e32 v5, v1
	v_mov_b32_e32 v40, v101
	v_mov_b32_e32 v41, v97
	v_pk_add_f32 v[0:1], v[4:5], v[6:7]
	v_mov_b32_e32 v4, v69
	v_mov_b32_e32 v5, v61
	;; [unrolled: 1-line block ×5, first 2 shown]
	v_pk_add_f32 v[2:3], v[40:41], v[2:3]
	v_mov_b32_e32 v101, v96
	s_movk_i32 s0, 0x60
	v_pk_add_f32 v[0:1], v[4:5], v[0:1]
	v_mov_b32_e32 v69, v60
	v_pk_add_f32 v[34:35], v[106:107], v[34:35]
	v_pk_add_f32 v[46:47], v[116:117], v[46:47]
	;; [unrolled: 1-line block ×5, first 2 shown]
	v_mad_u32_u24 v44, v10, s0, v86
	v_pk_add_f32 v[16:17], v[68:69], v[0:1]
	v_cmp_gt_u32_e64 s[0:1], 13, v10
	s_waitcnt lgkmcnt(0)
	; wave barrier
	ds_write2_b64 v44, v[14:15], v[34:35] offset1:1
	ds_write2_b64 v44, v[48:49], v[46:47] offset0:2 offset1:3
	ds_write2_b64 v44, v[50:51], v[40:41] offset0:4 offset1:5
	;; [unrolled: 1-line block ×5, first 2 shown]
	ds_write_b64 v44, v[2:3] offset:96
	s_waitcnt lgkmcnt(0)
	; wave barrier
	s_waitcnt lgkmcnt(0)
                                        ; implicit-def: $vgpr4
                                        ; implicit-def: $vgpr18
	s_and_saveexec_b64 s[2:3], s[0:1]
	s_cbranch_execz .LBB0_13
; %bb.12:
	ds_read2_b64 v[20:23], v86 offset0:13 offset1:26
	ds_read2_b64 v[26:29], v86 offset0:39 offset1:52
	;; [unrolled: 1-line block ×7, first 2 shown]
	ds_read_b64 v[14:15], v13
	ds_read_b64 v[18:19], v86 offset:1560
	s_waitcnt lgkmcnt(5)
	v_mov_b32_e32 v17, v35
	v_mov_b32_e32 v16, v34
	;; [unrolled: 1-line block ×14, first 2 shown]
	s_waitcnt lgkmcnt(4)
	v_mov_b64_e32 v[30:31], v[42:43]
	v_mov_b64_e32 v[32:33], v[44:45]
	s_waitcnt lgkmcnt(3)
	v_mov_b64_e32 v[28:29], v[0:1]
.LBB0_13:
	s_or_b64 exec, exec, s[2:3]
	s_waitcnt lgkmcnt(0)
	; wave barrier
	s_waitcnt lgkmcnt(0)
	s_and_saveexec_b64 s[2:3], s[0:1]
	s_cbranch_execz .LBB0_15
; %bb.14:
	v_add_u32_e32 v0, -13, v10
	v_cndmask_b32_e64 v0, v0, v10, s[0:1]
	v_mul_i32_i24_e32 v0, 15, v0
	v_mov_b32_e32 v1, 0
	v_lshl_add_u64 v[0:1], v[0:1], 3, s[4:5]
	global_load_dwordx4 v[20:23], v[0:1], off
	global_load_dwordx4 v[42:45], v[0:1], off offset:64
	global_load_dwordx4 v[52:55], v[0:1], off offset:32
	global_load_dwordx4 v[56:59], v[0:1], off offset:96
	global_load_dwordx4 v[60:63], v[0:1], off offset:48
	global_load_dwordx4 v[64:67], v[0:1], off offset:16
	global_load_dwordx4 v[68:71], v[0:1], off offset:80
	global_load_dwordx2 v[26:27], v[0:1], off offset:112
	v_mov_b32_e32 v0, v49
	v_mov_b32_e32 v38, v25
	v_mov_b32_e32 v74, v51
	v_mov_b32_e32 v72, v7
	v_mov_b32_e32 v76, v47
	v_mov_b32_e32 v78, v17
	v_mov_b32_e32 v80, v19
	v_mov_b32_e32 v82, v35
	v_mov_b32_e32 v84, v41
	v_mov_b32_e32 v88, v5
	s_mov_b32 s0, 0x3f3504f3
	s_mov_b32 s6, 0x3ec3ef15
	;; [unrolled: 1-line block ×3, first 2 shown]
	s_waitcnt vmcnt(7)
	v_pk_mul_f32 v[0:1], v[0:1], v[22:23] op_sel_hi:[0,1]
	s_waitcnt vmcnt(6)
	v_pk_mul_f32 v[90:91], v[32:33], v[44:45] op_sel:[1,0]
	s_waitcnt vmcnt(5)
	v_pk_mul_f32 v[38:39], v[38:39], v[54:55] op_sel_hi:[0,1]
	v_pk_fma_f32 v[100:101], v[24:25], v[54:55], v[38:39] op_sel:[0,0,1] op_sel_hi:[1,1,0]
	v_pk_fma_f32 v[24:25], v[24:25], v[54:55], v[38:39] op_sel:[0,0,1] op_sel_hi:[0,1,0] neg_lo:[1,0,0] neg_hi:[1,0,0]
	s_waitcnt vmcnt(2)
	v_pk_mul_f32 v[74:75], v[74:75], v[66:67] op_sel_hi:[0,1]
	s_waitcnt vmcnt(1)
	v_pk_mul_f32 v[94:95], v[2:3], v[70:71] op_sel:[1,0]
	v_pk_fma_f32 v[54:55], v[48:49], v[22:23], v[0:1] op_sel:[0,0,1] op_sel_hi:[1,1,0]
	v_pk_fma_f32 v[0:1], v[48:49], v[22:23], v[0:1] op_sel:[0,0,1] op_sel_hi:[0,1,0] neg_lo:[1,0,0] neg_hi:[1,0,0]
	v_pk_fma_f32 v[22:23], v[32:33], v[44:45], v[90:91] op_sel:[0,0,1] op_sel_hi:[1,1,0]
	v_pk_fma_f32 v[32:33], v[32:33], v[44:45], v[90:91] op_sel:[0,0,1] op_sel_hi:[0,1,0] neg_lo:[1,0,0] neg_hi:[1,0,0]
	v_pk_mul_f32 v[72:73], v[72:73], v[58:59] op_sel_hi:[0,1]
	v_pk_mul_f32 v[92:93], v[36:37], v[62:63] op_sel:[1,0]
	v_pk_mul_f32 v[76:77], v[76:77], v[64:65] op_sel_hi:[0,1]
	v_pk_mul_f32 v[96:97], v[28:29], v[68:69] op_sel:[1,0]
	v_pk_mul_f32 v[78:79], v[78:79], v[60:61] op_sel_hi:[0,1]
	s_waitcnt vmcnt(0)
	v_pk_mul_f32 v[80:81], v[80:81], v[26:27] op_sel_hi:[0,1]
	v_pk_mul_f32 v[82:83], v[82:83], v[20:21] op_sel_hi:[0,1]
	v_pk_mul_f32 v[98:99], v[30:31], v[42:43] op_sel:[1,0]
	v_pk_mul_f32 v[84:85], v[84:85], v[52:53] op_sel_hi:[0,1]
	v_pk_mul_f32 v[88:89], v[88:89], v[56:57] op_sel_hi:[0,1]
	v_pk_fma_f32 v[44:45], v[50:51], v[66:67], v[74:75] op_sel:[0,0,1] op_sel_hi:[1,1,0]
	v_pk_fma_f32 v[48:49], v[50:51], v[66:67], v[74:75] op_sel:[0,0,1] op_sel_hi:[0,1,0] neg_lo:[1,0,0] neg_hi:[1,0,0]
	v_pk_fma_f32 v[50:51], v[2:3], v[70:71], v[94:95] op_sel:[0,0,1] op_sel_hi:[1,1,0]
	v_pk_fma_f32 v[2:3], v[2:3], v[70:71], v[94:95] op_sel:[0,0,1] op_sel_hi:[0,1,0] neg_lo:[1,0,0] neg_hi:[1,0,0]
	v_mov_b32_e32 v55, v1
	v_mov_b32_e32 v23, v33
	v_pk_fma_f32 v[38:39], v[6:7], v[58:59], v[72:73] op_sel:[0,0,1] op_sel_hi:[1,1,0]
	v_pk_fma_f32 v[6:7], v[6:7], v[58:59], v[72:73] op_sel:[0,0,1] op_sel_hi:[0,1,0] neg_lo:[1,0,0] neg_hi:[1,0,0]
	v_pk_fma_f32 v[58:59], v[36:37], v[62:63], v[92:93] op_sel:[0,0,1] op_sel_hi:[1,1,0]
	v_pk_fma_f32 v[36:37], v[36:37], v[62:63], v[92:93] op_sel:[0,0,1] op_sel_hi:[0,1,0] neg_lo:[1,0,0] neg_hi:[1,0,0]
	;; [unrolled: 2-line block ×9, first 2 shown]
	v_pk_fma_f32 v[34:35], v[30:31], v[42:43], v[98:99] op_sel:[0,0,1] op_sel_hi:[1,1,0]
	v_mov_b32_e32 v51, v3
	v_pk_add_f32 v[2:3], v[54:55], v[22:23] neg_lo:[0,1] neg_hi:[0,1]
	v_pk_fma_f32 v[22:23], v[30:31], v[42:43], v[98:99] op_sel:[0,0,1] op_sel_hi:[0,1,0] neg_lo:[1,0,0] neg_hi:[1,0,0]
	v_mov_b32_e32 v101, v25
	v_mov_b32_e32 v39, v7
	;; [unrolled: 1-line block ×12, first 2 shown]
	v_pk_add_f32 v[0:1], v[100:101], v[38:39] neg_lo:[0,1] neg_hi:[0,1]
	v_pk_add_f32 v[4:5], v[44:45], v[50:51] neg_lo:[0,1] neg_hi:[0,1]
	;; [unrolled: 1-line block ×7, first 2 shown]
	v_pk_fma_f32 v[24:25], v[54:55], 2.0, v[2:3] op_sel_hi:[1,0,1] neg_lo:[0,0,1] neg_hi:[0,0,1]
	v_pk_fma_f32 v[28:29], v[100:101], 2.0, v[0:1] op_sel_hi:[1,0,1] neg_lo:[0,0,1] neg_hi:[0,0,1]
	;; [unrolled: 1-line block ×8, first 2 shown]
	v_pk_add_f32 v[28:29], v[24:25], v[28:29] neg_lo:[0,1] neg_hi:[0,1]
	v_pk_add_f32 v[30:31], v[14:15], v[30:31] neg_lo:[0,1] neg_hi:[0,1]
	;; [unrolled: 1-line block ×4, first 2 shown]
	v_pk_fma_f32 v[14:15], v[14:15], 2.0, v[30:31] op_sel_hi:[1,0,1] neg_lo:[0,0,1] neg_hi:[0,0,1]
	v_pk_fma_f32 v[24:25], v[24:25], 2.0, v[28:29] op_sel_hi:[1,0,1] neg_lo:[0,0,1] neg_hi:[0,0,1]
	;; [unrolled: 1-line block ×4, first 2 shown]
	v_pk_add_f32 v[24:25], v[14:15], v[24:25] neg_lo:[0,1] neg_hi:[0,1]
	v_pk_add_f32 v[26:27], v[34:35], v[26:27] neg_lo:[0,1] neg_hi:[0,1]
	v_pk_fma_f32 v[14:15], v[14:15], 2.0, v[24:25] op_sel_hi:[1,0,1] neg_lo:[0,0,1] neg_hi:[0,0,1]
	v_pk_fma_f32 v[34:35], v[34:35], 2.0, v[26:27] op_sel_hi:[1,0,1] neg_lo:[0,0,1] neg_hi:[0,0,1]
	s_nop 0
	v_pk_add_f32 v[34:35], v[14:15], v[34:35] neg_lo:[0,1] neg_hi:[0,1]
	s_nop 0
	v_pk_fma_f32 v[14:15], v[14:15], 2.0, v[34:35] op_sel_hi:[1,0,1] neg_lo:[0,0,1] neg_hi:[0,0,1]
	ds_write_b64 v13, v[14:15]
	v_pk_add_f32 v[14:15], v[2:3], v[0:1] op_sel:[0,1] op_sel_hi:[1,0]
	v_pk_add_f32 v[0:1], v[2:3], v[0:1] op_sel:[0,1] op_sel_hi:[1,0] neg_lo:[0,1] neg_hi:[0,1]
	s_nop 0
	v_mov_b32_e32 v15, v1
	v_pk_add_f32 v[0:1], v[6:7], v[4:5] op_sel:[0,1] op_sel_hi:[1,0]
	v_pk_add_f32 v[4:5], v[6:7], v[4:5] op_sel:[0,1] op_sel_hi:[1,0] neg_lo:[0,1] neg_hi:[0,1]
	v_pk_fma_f32 v[2:3], v[2:3], 2.0, v[14:15] op_sel_hi:[1,0,1] neg_lo:[0,0,1] neg_hi:[0,0,1]
	v_mov_b32_e32 v1, v5
	v_pk_add_f32 v[4:5], v[18:19], v[16:17] op_sel:[0,1] op_sel_hi:[1,0]
	v_pk_add_f32 v[16:17], v[18:19], v[16:17] op_sel:[0,1] op_sel_hi:[1,0] neg_lo:[0,1] neg_hi:[0,1]
	v_pk_fma_f32 v[6:7], v[6:7], 2.0, v[0:1] op_sel_hi:[1,0,1] neg_lo:[0,0,1] neg_hi:[0,0,1]
	;; [unrolled: 4-line block ×3, first 2 shown]
	v_mov_b32_e32 v17, v21
	v_pk_mul_f32 v[20:21], v[2:3], s[0:1] op_sel_hi:[1,0]
	v_pk_fma_f32 v[2:3], v[2:3], s[0:1], v[6:7] op_sel_hi:[1,0,1] neg_lo:[1,0,0] neg_hi:[1,0,0]
	v_pk_fma_f32 v[22:23], v[22:23], 2.0, v[16:17] op_sel_hi:[1,0,1] neg_lo:[0,0,1] neg_hi:[0,0,1]
	v_pk_add_f32 v[38:39], v[2:3], v[20:21] op_sel:[0,1] op_sel_hi:[1,0]
	v_pk_add_f32 v[2:3], v[2:3], v[20:21] op_sel:[0,1] op_sel_hi:[1,0] neg_lo:[0,1] neg_hi:[0,1]
	v_pk_mul_f32 v[20:21], v[18:19], s[0:1] op_sel_hi:[1,0]
	v_pk_fma_f32 v[18:19], v[18:19], s[0:1], v[22:23] op_sel_hi:[1,0,1] neg_lo:[1,0,0] neg_hi:[1,0,0]
	v_mov_b32_e32 v39, v3
	v_pk_add_f32 v[40:41], v[18:19], v[20:21] op_sel:[0,1] op_sel_hi:[1,0]
	v_pk_add_f32 v[18:19], v[18:19], v[20:21] op_sel:[0,1] op_sel_hi:[1,0] neg_lo:[0,1] neg_hi:[0,1]
	v_fmamk_f32 v20, v40, 0x3ec3ef15, v38
	v_mov_b32_e32 v41, v19
	v_fmamk_f32 v2, v19, 0x3ec3ef15, v3
	v_fmac_f32_e32 v20, 0x3f6c835e, v19
	v_pk_fma_f32 v[18:19], v[22:23], 2.0, v[40:41] op_sel_hi:[1,0,1] neg_lo:[0,0,1] neg_hi:[0,0,1]
	v_pk_fma_f32 v[6:7], v[6:7], 2.0, v[38:39] op_sel_hi:[1,0,1] neg_lo:[0,0,1] neg_hi:[0,0,1]
	v_pk_mul_f32 v[22:23], v[18:19], s[6:7] op_sel_hi:[1,0]
	v_pk_fma_f32 v[18:19], v[18:19], s[8:9], v[6:7] op_sel_hi:[1,0,1] neg_lo:[1,0,0] neg_hi:[1,0,0]
	v_fmamk_f32 v21, v40, 0xbf6c835e, v2
	v_fma_f32 v2, v38, 2.0, -v20
	v_pk_add_f32 v[38:39], v[18:19], v[22:23] op_sel:[0,1] op_sel_hi:[1,0]
	v_pk_add_f32 v[18:19], v[18:19], v[22:23] op_sel:[0,1] op_sel_hi:[1,0] neg_lo:[0,1] neg_hi:[0,1]
	v_pk_add_f32 v[22:23], v[30:31], v[28:29] op_sel:[0,1] op_sel_hi:[1,0] neg_lo:[0,1] neg_hi:[0,1]
	v_mov_b32_e32 v39, v19
	v_pk_add_f32 v[18:19], v[30:31], v[28:29] op_sel:[0,1] op_sel_hi:[1,0]
	v_pk_add_f32 v[28:29], v[36:37], v[32:33] op_sel:[0,1] op_sel_hi:[1,0] neg_lo:[0,1] neg_hi:[0,1]
	v_mov_b32_e32 v19, v23
	v_pk_add_f32 v[22:23], v[36:37], v[32:33] op_sel:[0,1] op_sel_hi:[1,0]
	v_pk_fma_f32 v[30:31], v[30:31], 2.0, v[18:19] op_sel_hi:[1,0,1] neg_lo:[0,0,1] neg_hi:[0,0,1]
	v_mov_b32_e32 v23, v29
	v_pk_fma_f32 v[28:29], v[36:37], 2.0, v[22:23] op_sel_hi:[1,0,1] neg_lo:[0,0,1] neg_hi:[0,0,1]
	v_pk_fma_f32 v[6:7], v[6:7], 2.0, v[38:39] op_sel_hi:[1,0,1] neg_lo:[0,0,1] neg_hi:[0,0,1]
	v_pk_mul_f32 v[32:33], v[28:29], s[0:1] op_sel_hi:[1,0]
	v_pk_fma_f32 v[28:29], v[28:29], s[0:1], v[30:31] op_sel_hi:[1,0,1] neg_lo:[1,0,0] neg_hi:[1,0,0]
	v_fma_f32 v3, v3, 2.0, -v21
	v_pk_add_f32 v[36:37], v[28:29], v[32:33] op_sel:[0,1] op_sel_hi:[1,0]
	v_pk_add_f32 v[28:29], v[28:29], v[32:33] op_sel:[0,1] op_sel_hi:[1,0] neg_lo:[0,1] neg_hi:[0,1]
	s_nop 0
	v_mov_b32_e32 v37, v29
	v_pk_fma_f32 v[28:29], v[30:31], 2.0, v[36:37] op_sel_hi:[1,0,1] neg_lo:[0,0,1] neg_hi:[0,0,1]
	ds_write2_b64 v86, v[6:7], v[28:29] offset0:13 offset1:26
	v_pk_mul_f32 v[6:7], v[14:15], s[0:1] op_sel_hi:[1,0]
	v_pk_fma_f32 v[14:15], v[14:15], s[0:1], v[0:1] op_sel_hi:[1,0,1]
	s_nop 0
	v_pk_add_f32 v[28:29], v[14:15], v[6:7] op_sel:[0,1] op_sel_hi:[1,0]
	v_pk_add_f32 v[6:7], v[14:15], v[6:7] op_sel:[0,1] op_sel_hi:[1,0] neg_lo:[0,1] neg_hi:[0,1]
	v_pk_mul_f32 v[14:15], v[4:5], s[0:1] op_sel_hi:[1,0]
	v_pk_fma_f32 v[4:5], v[4:5], s[0:1], v[16:17] op_sel_hi:[1,0,1]
	v_mov_b32_e32 v29, v7
	v_pk_add_f32 v[30:31], v[4:5], v[14:15] op_sel:[0,1] op_sel_hi:[1,0]
	v_pk_add_f32 v[4:5], v[4:5], v[14:15] op_sel:[0,1] op_sel_hi:[1,0] neg_lo:[0,1] neg_hi:[0,1]
	v_fmamk_f32 v14, v30, 0x3f6c835e, v28
	v_mov_b32_e32 v31, v5
	v_fmamk_f32 v4, v5, 0x3f6c835e, v7
	v_fmamk_f32 v15, v30, 0xbec3ef15, v4
	v_fmac_f32_e32 v14, 0x3ec3ef15, v5
	v_pk_fma_f32 v[4:5], v[16:17], 2.0, v[30:31] op_sel_hi:[1,0,1] neg_lo:[0,0,1] neg_hi:[0,0,1]
	v_pk_fma_f32 v[0:1], v[0:1], 2.0, v[28:29] op_sel_hi:[1,0,1] neg_lo:[0,0,1] neg_hi:[0,0,1]
	v_pk_mul_f32 v[16:17], v[4:5], s[8:9] op_sel_hi:[1,0]
	v_pk_fma_f32 v[4:5], v[4:5], s[6:7], v[0:1] op_sel_hi:[1,0,1] neg_lo:[1,0,0] neg_hi:[1,0,0]
	v_fma_f32 v6, v28, 2.0, -v14
	v_pk_add_f32 v[28:29], v[4:5], v[16:17] op_sel:[0,1] op_sel_hi:[1,0]
	v_pk_add_f32 v[4:5], v[4:5], v[16:17] op_sel:[0,1] op_sel_hi:[1,0] neg_lo:[0,1] neg_hi:[0,1]
	v_pk_add_f32 v[16:17], v[24:25], v[26:27] op_sel:[0,1] op_sel_hi:[1,0] neg_lo:[0,1] neg_hi:[0,1]
	v_mov_b32_e32 v29, v5
	v_pk_add_f32 v[4:5], v[24:25], v[26:27] op_sel:[0,1] op_sel_hi:[1,0]
	v_pk_fma_f32 v[0:1], v[0:1], 2.0, v[28:29] op_sel_hi:[1,0,1] neg_lo:[0,0,1] neg_hi:[0,0,1]
	v_mov_b32_e32 v5, v17
	v_pk_fma_f32 v[16:17], v[24:25], 2.0, v[4:5] op_sel_hi:[1,0,1] neg_lo:[0,0,1] neg_hi:[0,0,1]
	ds_write2_b64 v86, v[0:1], v[16:17] offset0:39 offset1:52
	v_pk_mul_f32 v[0:1], v[22:23], s[0:1] op_sel_hi:[1,0]
	v_pk_fma_f32 v[16:17], v[22:23], s[0:1], v[18:19] op_sel_hi:[1,0,1]
	v_fma_f32 v7, v7, 2.0, -v15
	v_pk_add_f32 v[22:23], v[16:17], v[0:1] op_sel:[0,1] op_sel_hi:[1,0]
	v_pk_add_f32 v[0:1], v[16:17], v[0:1] op_sel:[0,1] op_sel_hi:[1,0] neg_lo:[0,1] neg_hi:[0,1]
	s_nop 0
	v_mov_b32_e32 v23, v1
	v_pk_fma_f32 v[0:1], v[18:19], 2.0, v[22:23] op_sel_hi:[1,0,1] neg_lo:[0,0,1] neg_hi:[0,0,1]
	ds_write2_b64 v86, v[2:3], v[0:1] offset0:65 offset1:78
	ds_write2_b64 v86, v[6:7], v[34:35] offset0:91 offset1:104
	;; [unrolled: 1-line block ×5, first 2 shown]
	ds_write_b64 v86, v[14:15] offset:1560
.LBB0_15:
	s_or_b64 exec, exec, s[2:3]
	s_waitcnt lgkmcnt(0)
	; wave barrier
	s_waitcnt lgkmcnt(0)
	ds_read_b64 v[2:3], v13
	v_sub_u32_e32 v14, v11, v12
	v_cmp_ne_u32_e64 s[0:1], 0, v10
                                        ; implicit-def: $vgpr6_vgpr7
                                        ; implicit-def: $vgpr5
                                        ; implicit-def: $vgpr0_vgpr1
	s_and_saveexec_b64 s[2:3], s[0:1]
	s_xor_b64 s[0:1], exec, s[2:3]
	s_cbranch_execz .LBB0_17
; %bb.16:
	global_load_dwordx2 v[0:1], v12, s[4:5] offset:1560
	ds_read_b64 v[4:5], v14 offset:1664
	v_mov_b32_e32 v7, 0.5
	v_mov_b32_e32 v16, v7
	v_mov_b32_e32 v11, 0
	s_waitcnt lgkmcnt(0)
	v_pk_add_f32 v[18:19], v[4:5], v[2:3]
	v_pk_add_f32 v[2:3], v[2:3], v[4:5] neg_lo:[0,1] neg_hi:[0,1]
	v_mov_b32_e32 v4, v19
	v_mov_b32_e32 v5, v2
	v_pk_mul_f32 v[20:21], v[4:5], 0.5 op_sel_hi:[1,0]
	s_waitcnt vmcnt(0)
	v_mov_b32_e32 v6, v1
	v_mov_b32_e32 v2, v21
	;; [unrolled: 1-line block ×4, first 2 shown]
	v_pk_mul_f32 v[2:3], v[6:7], v[2:3]
	v_pk_mul_f32 v[4:5], v[0:1], v[20:21] op_sel_hi:[0,1]
	v_pk_fma_f32 v[6:7], v[18:19], v[16:17], v[2:3]
	v_pk_fma_f32 v[2:3], v[18:19], v[16:17], v[2:3] neg_lo:[0,0,1] neg_hi:[0,0,1]
	v_add_f32_e32 v4, v4, v6
	v_sub_f32_e32 v5, v7, v5
	v_pk_fma_f32 v[6:7], v[0:1], v[20:21], v[2:3] op_sel_hi:[0,1,1] neg_lo:[1,0,0] neg_hi:[1,0,0]
	ds_write_b32 v13, v4
	v_mov_b64_e32 v[0:1], v[10:11]
                                        ; implicit-def: $vgpr2_vgpr3
                                        ; implicit-def: $vgpr11
.LBB0_17:
	s_andn2_saveexec_b64 s[0:1], s[0:1]
	s_cbranch_execz .LBB0_19
; %bb.18:
	ds_read_b32 v1, v11 offset:836
	s_waitcnt lgkmcnt(1)
	v_mov_b32_e32 v0, v3
	v_add_f32_e32 v4, v3, v2
	ds_write_b32 v13, v4
	s_waitcnt lgkmcnt(1)
	v_pk_add_f32 v[4:5], v[2:3], v[0:1] neg_lo:[0,1] neg_hi:[0,1]
	v_xor_b32_e32 v0, 0x80000000, v1
	v_mov_b32_e32 v5, 0
	ds_write_b32 v11, v0 offset:836
	v_mov_b64_e32 v[0:1], 0
	v_mov_b64_e32 v[6:7], v[4:5]
.LBB0_19:
	s_or_b64 exec, exec, s[0:1]
	s_add_u32 s0, s4, 0x618
	s_addc_u32 s1, s5, 0
	s_waitcnt lgkmcnt(0)
	v_lshl_add_u64 v[2:3], v[0:1], 3, s[0:1]
	global_load_dwordx2 v[16:17], v[2:3], off offset:128
	global_load_dwordx2 v[18:19], v[2:3], off offset:256
	;; [unrolled: 1-line block ×4, first 2 shown]
	ds_write_b32 v13, v5 offset:4
	ds_write_b64 v14, v[6:7] offset:1664
	ds_read_b64 v[6:7], v13 offset:128
	ds_read_b64 v[24:25], v14 offset:1536
	global_load_dwordx2 v[28:29], v[2:3], off offset:640
	v_mov_b32_e32 v5, 0.5
	v_mov_b32_e32 v26, v5
	v_or_b32_e32 v11, 0x60, v10
	s_waitcnt lgkmcnt(0)
	v_pk_add_f32 v[30:31], v[6:7], v[24:25]
	v_pk_add_f32 v[6:7], v[6:7], v[24:25] neg_lo:[0,1] neg_hi:[0,1]
	v_mov_b32_e32 v24, v31
	v_mov_b32_e32 v25, v6
	v_pk_mul_f32 v[24:25], v[24:25], 0.5 op_sel_hi:[1,0]
	s_movk_i32 s0, 0x68
	v_mov_b32_e32 v6, v25
	v_mov_b32_e32 v31, v24
	v_cmp_gt_u32_e64 s[0:1], s0, v11
	s_waitcnt vmcnt(4)
	v_mov_b32_e32 v4, v17
	v_mov_b32_e32 v27, v17
	v_pk_mul_f32 v[6:7], v[4:5], v[6:7]
	s_waitcnt vmcnt(3)
	v_mov_b32_e32 v4, v19
	v_pk_fma_f32 v[32:33], v[30:31], v[26:27], v[6:7]
	v_pk_fma_f32 v[6:7], v[30:31], v[26:27], v[6:7] neg_lo:[0,0,1] neg_hi:[0,0,1]
	v_pk_fma_f32 v[26:27], v[16:17], v[24:25], v[32:33]
	v_pk_fma_f32 v[30:31], v[16:17], v[24:25], v[32:33] op_sel_hi:[0,1,1] neg_lo:[1,0,0] neg_hi:[1,0,0]
	v_mov_b32_e32 v27, v31
	v_pk_fma_f32 v[6:7], v[16:17], v[24:25], v[6:7] op_sel_hi:[0,1,1] neg_lo:[1,0,0] neg_hi:[1,0,0]
	ds_write_b64 v13, v[26:27] offset:128
	ds_write_b64 v14, v[6:7] offset:1536
	ds_read_b64 v[6:7], v13 offset:256
	ds_read_b64 v[16:17], v14 offset:1408
	v_mov_b32_e32 v24, v5
	v_mov_b32_e32 v25, v19
	s_waitcnt lgkmcnt(0)
	v_pk_add_f32 v[26:27], v[6:7], v[16:17]
	v_pk_add_f32 v[6:7], v[6:7], v[16:17] neg_lo:[0,1] neg_hi:[0,1]
	v_mov_b32_e32 v16, v27
	v_mov_b32_e32 v17, v6
	v_pk_mul_f32 v[16:17], v[16:17], 0.5 op_sel_hi:[1,0]
	s_nop 0
	v_mov_b32_e32 v6, v17
	v_mov_b32_e32 v27, v16
	v_pk_mul_f32 v[6:7], v[4:5], v[6:7]
	s_waitcnt vmcnt(2)
	v_mov_b32_e32 v4, v21
	v_pk_fma_f32 v[30:31], v[26:27], v[24:25], v[6:7]
	v_pk_fma_f32 v[6:7], v[26:27], v[24:25], v[6:7] neg_lo:[0,0,1] neg_hi:[0,0,1]
	v_pk_fma_f32 v[24:25], v[18:19], v[16:17], v[30:31]
	v_pk_fma_f32 v[26:27], v[18:19], v[16:17], v[30:31] op_sel_hi:[0,1,1] neg_lo:[1,0,0] neg_hi:[1,0,0]
	v_mov_b32_e32 v25, v27
	v_pk_fma_f32 v[6:7], v[18:19], v[16:17], v[6:7] op_sel_hi:[0,1,1] neg_lo:[1,0,0] neg_hi:[1,0,0]
	ds_write_b64 v13, v[24:25] offset:256
	ds_write_b64 v14, v[6:7] offset:1408
	ds_read_b64 v[6:7], v13 offset:384
	ds_read_b64 v[16:17], v14 offset:1280
	v_mov_b32_e32 v18, v5
	v_mov_b32_e32 v19, v21
	s_waitcnt lgkmcnt(0)
	v_pk_add_f32 v[24:25], v[6:7], v[16:17]
	v_pk_add_f32 v[6:7], v[6:7], v[16:17] neg_lo:[0,1] neg_hi:[0,1]
	v_mov_b32_e32 v16, v25
	v_mov_b32_e32 v17, v6
	v_pk_mul_f32 v[16:17], v[16:17], 0.5 op_sel_hi:[1,0]
	s_nop 0
	;; [unrolled: 24-line block ×4, first 2 shown]
	v_mov_b32_e32 v6, v17
	v_mov_b32_e32 v21, v16
	v_pk_mul_f32 v[6:7], v[4:5], v[6:7]
	s_nop 0
	v_pk_fma_f32 v[22:23], v[20:21], v[18:19], v[6:7]
	v_pk_fma_f32 v[6:7], v[20:21], v[18:19], v[6:7] neg_lo:[0,0,1] neg_hi:[0,0,1]
	v_pk_fma_f32 v[18:19], v[28:29], v[16:17], v[22:23]
	v_pk_fma_f32 v[20:21], v[28:29], v[16:17], v[22:23] op_sel_hi:[0,1,1] neg_lo:[1,0,0] neg_hi:[1,0,0]
	v_mov_b32_e32 v19, v21
	v_pk_fma_f32 v[6:7], v[28:29], v[16:17], v[6:7] op_sel_hi:[0,1,1] neg_lo:[1,0,0] neg_hi:[1,0,0]
	ds_write_b64 v13, v[18:19] offset:640
	ds_write_b64 v14, v[6:7] offset:1024
	s_and_saveexec_b64 s[2:3], s[0:1]
	s_cbranch_execz .LBB0_21
; %bb.20:
	global_load_dwordx2 v[2:3], v[2:3], off offset:768
	ds_read_b64 v[6:7], v13 offset:768
	ds_read_b64 v[16:17], v14 offset:896
	v_mov_b32_e32 v18, v5
	s_waitcnt lgkmcnt(0)
	v_pk_add_f32 v[20:21], v[6:7], v[16:17]
	v_pk_add_f32 v[6:7], v[6:7], v[16:17] neg_lo:[0,1] neg_hi:[0,1]
	v_mov_b32_e32 v16, v21
	v_mov_b32_e32 v17, v6
	v_pk_mul_f32 v[16:17], v[16:17], 0.5 op_sel_hi:[1,0]
	s_waitcnt vmcnt(0)
	v_mov_b32_e32 v4, v3
	v_mov_b32_e32 v6, v17
	;; [unrolled: 1-line block ×4, first 2 shown]
	v_pk_mul_f32 v[4:5], v[4:5], v[6:7]
	s_nop 0
	v_pk_fma_f32 v[6:7], v[20:21], v[18:19], v[4:5]
	v_pk_fma_f32 v[4:5], v[20:21], v[18:19], v[4:5] neg_lo:[0,0,1] neg_hi:[0,0,1]
	v_pk_fma_f32 v[18:19], v[2:3], v[16:17], v[6:7]
	v_pk_fma_f32 v[6:7], v[2:3], v[16:17], v[6:7] op_sel_hi:[0,1,1] neg_lo:[1,0,0] neg_hi:[1,0,0]
	v_mov_b32_e32 v19, v7
	v_pk_fma_f32 v[2:3], v[2:3], v[16:17], v[4:5] op_sel_hi:[0,1,1] neg_lo:[1,0,0] neg_hi:[1,0,0]
	ds_write_b64 v13, v[18:19] offset:768
	ds_write_b64 v14, v[2:3] offset:896
.LBB0_21:
	s_or_b64 exec, exec, s[2:3]
	s_waitcnt lgkmcnt(0)
	; wave barrier
	s_waitcnt lgkmcnt(0)
	s_and_saveexec_b64 s[0:1], vcc
	s_cbranch_execz .LBB0_24
; %bb.22:
	ds_read2_b64 v[2:5], v13 offset1:16
	ds_read2_b64 v[14:17], v13 offset0:32 offset1:48
	ds_read2_b64 v[18:21], v13 offset0:64 offset1:80
	v_lshl_add_u64 v[22:23], v[0:1], 3, v[8:9]
	v_cmp_eq_u32_e32 vcc, 15, v10
	s_waitcnt lgkmcnt(2)
	global_store_dwordx2 v[22:23], v[2:3], off
	global_store_dwordx2 v[22:23], v[4:5], off offset:128
	s_waitcnt lgkmcnt(1)
	global_store_dwordx2 v[22:23], v[14:15], off offset:256
	ds_read2_b64 v[0:3], v13 offset0:96 offset1:112
	global_store_dwordx2 v[22:23], v[16:17], off offset:384
	s_waitcnt lgkmcnt(1)
	global_store_dwordx2 v[22:23], v[18:19], off offset:512
	global_store_dwordx2 v[22:23], v[20:21], off offset:640
	ds_read2_b64 v[4:7], v13 offset0:128 offset1:144
	ds_read2_b64 v[14:17], v13 offset0:160 offset1:176
	s_waitcnt lgkmcnt(2)
	global_store_dwordx2 v[22:23], v[0:1], off offset:768
	ds_read_b64 v[0:1], v13 offset:1536
	global_store_dwordx2 v[22:23], v[2:3], off offset:896
	s_waitcnt lgkmcnt(2)
	global_store_dwordx2 v[22:23], v[4:5], off offset:1024
	global_store_dwordx2 v[22:23], v[6:7], off offset:1152
	s_waitcnt lgkmcnt(1)
	global_store_dwordx2 v[22:23], v[14:15], off offset:1280
	;; [unrolled: 3-line block ×3, first 2 shown]
	s_and_b64 exec, exec, vcc
	s_cbranch_execz .LBB0_24
; %bb.23:
	ds_read_b64 v[0:1], v13 offset:1544
	s_waitcnt lgkmcnt(0)
	global_store_dwordx2 v[8:9], v[0:1], off offset:1664
.LBB0_24:
	s_endpgm
	.section	.rodata,"a",@progbits
	.p2align	6, 0x0
	.amdhsa_kernel fft_rtc_back_len208_factors_13_16_wgs_64_tpt_16_halfLds_sp_ip_CI_unitstride_sbrr_R2C_dirReg
		.amdhsa_group_segment_fixed_size 0
		.amdhsa_private_segment_fixed_size 0
		.amdhsa_kernarg_size 88
		.amdhsa_user_sgpr_count 2
		.amdhsa_user_sgpr_dispatch_ptr 0
		.amdhsa_user_sgpr_queue_ptr 0
		.amdhsa_user_sgpr_kernarg_segment_ptr 1
		.amdhsa_user_sgpr_dispatch_id 0
		.amdhsa_user_sgpr_kernarg_preload_length 0
		.amdhsa_user_sgpr_kernarg_preload_offset 0
		.amdhsa_user_sgpr_private_segment_size 0
		.amdhsa_uses_dynamic_stack 0
		.amdhsa_enable_private_segment 0
		.amdhsa_system_sgpr_workgroup_id_x 1
		.amdhsa_system_sgpr_workgroup_id_y 0
		.amdhsa_system_sgpr_workgroup_id_z 0
		.amdhsa_system_sgpr_workgroup_info 0
		.amdhsa_system_vgpr_workitem_id 0
		.amdhsa_next_free_vgpr 124
		.amdhsa_next_free_sgpr 46
		.amdhsa_accum_offset 124
		.amdhsa_reserve_vcc 1
		.amdhsa_float_round_mode_32 0
		.amdhsa_float_round_mode_16_64 0
		.amdhsa_float_denorm_mode_32 3
		.amdhsa_float_denorm_mode_16_64 3
		.amdhsa_dx10_clamp 1
		.amdhsa_ieee_mode 1
		.amdhsa_fp16_overflow 0
		.amdhsa_tg_split 0
		.amdhsa_exception_fp_ieee_invalid_op 0
		.amdhsa_exception_fp_denorm_src 0
		.amdhsa_exception_fp_ieee_div_zero 0
		.amdhsa_exception_fp_ieee_overflow 0
		.amdhsa_exception_fp_ieee_underflow 0
		.amdhsa_exception_fp_ieee_inexact 0
		.amdhsa_exception_int_div_zero 0
	.end_amdhsa_kernel
	.text
.Lfunc_end0:
	.size	fft_rtc_back_len208_factors_13_16_wgs_64_tpt_16_halfLds_sp_ip_CI_unitstride_sbrr_R2C_dirReg, .Lfunc_end0-fft_rtc_back_len208_factors_13_16_wgs_64_tpt_16_halfLds_sp_ip_CI_unitstride_sbrr_R2C_dirReg
                                        ; -- End function
	.section	.AMDGPU.csdata,"",@progbits
; Kernel info:
; codeLenInByte = 8292
; NumSgprs: 52
; NumVgprs: 124
; NumAgprs: 0
; TotalNumVgprs: 124
; ScratchSize: 0
; MemoryBound: 0
; FloatMode: 240
; IeeeMode: 1
; LDSByteSize: 0 bytes/workgroup (compile time only)
; SGPRBlocks: 6
; VGPRBlocks: 15
; NumSGPRsForWavesPerEU: 52
; NumVGPRsForWavesPerEU: 124
; AccumOffset: 124
; Occupancy: 4
; WaveLimiterHint : 1
; COMPUTE_PGM_RSRC2:SCRATCH_EN: 0
; COMPUTE_PGM_RSRC2:USER_SGPR: 2
; COMPUTE_PGM_RSRC2:TRAP_HANDLER: 0
; COMPUTE_PGM_RSRC2:TGID_X_EN: 1
; COMPUTE_PGM_RSRC2:TGID_Y_EN: 0
; COMPUTE_PGM_RSRC2:TGID_Z_EN: 0
; COMPUTE_PGM_RSRC2:TIDIG_COMP_CNT: 0
; COMPUTE_PGM_RSRC3_GFX90A:ACCUM_OFFSET: 30
; COMPUTE_PGM_RSRC3_GFX90A:TG_SPLIT: 0
	.text
	.p2alignl 6, 3212836864
	.fill 256, 4, 3212836864
	.type	__hip_cuid_63aa167ef8bd3ac2,@object ; @__hip_cuid_63aa167ef8bd3ac2
	.section	.bss,"aw",@nobits
	.globl	__hip_cuid_63aa167ef8bd3ac2
__hip_cuid_63aa167ef8bd3ac2:
	.byte	0                               ; 0x0
	.size	__hip_cuid_63aa167ef8bd3ac2, 1

	.ident	"AMD clang version 19.0.0git (https://github.com/RadeonOpenCompute/llvm-project roc-6.4.0 25133 c7fe45cf4b819c5991fe208aaa96edf142730f1d)"
	.section	".note.GNU-stack","",@progbits
	.addrsig
	.addrsig_sym __hip_cuid_63aa167ef8bd3ac2
	.amdgpu_metadata
---
amdhsa.kernels:
  - .agpr_count:     0
    .args:
      - .actual_access:  read_only
        .address_space:  global
        .offset:         0
        .size:           8
        .value_kind:     global_buffer
      - .offset:         8
        .size:           8
        .value_kind:     by_value
      - .actual_access:  read_only
        .address_space:  global
        .offset:         16
        .size:           8
        .value_kind:     global_buffer
      - .actual_access:  read_only
        .address_space:  global
        .offset:         24
        .size:           8
        .value_kind:     global_buffer
      - .offset:         32
        .size:           8
        .value_kind:     by_value
      - .actual_access:  read_only
        .address_space:  global
        .offset:         40
        .size:           8
        .value_kind:     global_buffer
      - .actual_access:  read_only
        .address_space:  global
        .offset:         48
        .size:           8
        .value_kind:     global_buffer
      - .offset:         56
        .size:           4
        .value_kind:     by_value
      - .actual_access:  read_only
        .address_space:  global
        .offset:         64
        .size:           8
        .value_kind:     global_buffer
      - .actual_access:  read_only
        .address_space:  global
        .offset:         72
        .size:           8
        .value_kind:     global_buffer
      - .address_space:  global
        .offset:         80
        .size:           8
        .value_kind:     global_buffer
    .group_segment_fixed_size: 0
    .kernarg_segment_align: 8
    .kernarg_segment_size: 88
    .language:       OpenCL C
    .language_version:
      - 2
      - 0
    .max_flat_workgroup_size: 64
    .name:           fft_rtc_back_len208_factors_13_16_wgs_64_tpt_16_halfLds_sp_ip_CI_unitstride_sbrr_R2C_dirReg
    .private_segment_fixed_size: 0
    .sgpr_count:     52
    .sgpr_spill_count: 0
    .symbol:         fft_rtc_back_len208_factors_13_16_wgs_64_tpt_16_halfLds_sp_ip_CI_unitstride_sbrr_R2C_dirReg.kd
    .uniform_work_group_size: 1
    .uses_dynamic_stack: false
    .vgpr_count:     124
    .vgpr_spill_count: 0
    .wavefront_size: 64
amdhsa.target:   amdgcn-amd-amdhsa--gfx950
amdhsa.version:
  - 1
  - 2
...

	.end_amdgpu_metadata
